;; amdgpu-corpus repo=ROCm/aiter kind=compiled arch=gfx90a opt=O3
	.text
	.amdgcn_target "amdgcn-amd-amdhsa--gfx90a"
	.amdhsa_code_object_version 6
	.section	.text._ZN12_GLOBAL__N_121numeric_limits_kernelEPj,"axG",@progbits,_ZN12_GLOBAL__N_121numeric_limits_kernelEPj,comdat
	.globl	_ZN12_GLOBAL__N_121numeric_limits_kernelEPj ; -- Begin function _ZN12_GLOBAL__N_121numeric_limits_kernelEPj
	.p2align	8
	.type	_ZN12_GLOBAL__N_121numeric_limits_kernelEPj,@function
_ZN12_GLOBAL__N_121numeric_limits_kernelEPj: ; @_ZN12_GLOBAL__N_121numeric_limits_kernelEPj
; %bb.0:
	v_cmp_eq_u32_e32 vcc, 0, v0
	s_and_saveexec_b64 s[0:1], vcc
	s_cbranch_execz .LBB0_2
; %bb.1:
	s_getpc_b64 s[0:1]
	s_add_u32 s0, s0, _ZN4opus14numeric_limitsIDF16_E7bin_minE@rel32@lo+4
	s_addc_u32 s1, s1, _ZN4opus14numeric_limitsIDF16_E7bin_minE@rel32@hi+12
	s_getpc_b64 s[2:3]
	s_add_u32 s2, s2, _ZN4opus14numeric_limitsIDF16_E7bin_maxE@rel32@lo+4
	s_addc_u32 s3, s3, _ZN4opus14numeric_limitsIDF16_E7bin_maxE@rel32@hi+12
	s_getpc_b64 s[6:7]
	s_add_u32 s6, s6, _ZN4opus14numeric_limitsIDF16_E10bin_lowestE@rel32@lo+4
	s_addc_u32 s7, s7, _ZN4opus14numeric_limitsIDF16_E10bin_lowestE@rel32@hi+12
	s_getpc_b64 s[8:9]
	s_add_u32 s8, s8, _ZN4opus14numeric_limitsIDF16_E8bin_qnanE@rel32@lo+4
	s_addc_u32 s9, s9, _ZN4opus14numeric_limitsIDF16_E8bin_qnanE@rel32@hi+12
	s_getpc_b64 s[10:11]
	s_add_u32 s10, s10, _ZN4opus14numeric_limitsIDF16_E7bin_infE@rel32@lo+4
	s_addc_u32 s11, s11, _ZN4opus14numeric_limitsIDF16_E7bin_infE@rel32@hi+12
	s_getpc_b64 s[12:13]
	s_add_u32 s12, s12, _ZN4opus14numeric_limitsItE7bin_minE@rel32@lo+4
	s_addc_u32 s13, s13, _ZN4opus14numeric_limitsItE7bin_minE@rel32@hi+12
	s_getpc_b64 s[14:15]
	s_add_u32 s14, s14, _ZN4opus14numeric_limitsItE7bin_maxE@rel32@lo+4
	s_addc_u32 s15, s15, _ZN4opus14numeric_limitsItE7bin_maxE@rel32@hi+12
	v_mov_b32_e32 v2, 0
	s_getpc_b64 s[16:17]
	s_add_u32 s16, s16, _ZN4opus14numeric_limitsItE10bin_lowestE@rel32@lo+4
	s_addc_u32 s17, s17, _ZN4opus14numeric_limitsItE10bin_lowestE@rel32@hi+12
	global_load_ushort v4, v2, s[0:1]
	global_load_ushort v5, v2, s[2:3]
	;; [unrolled: 1-line block ×8, first 2 shown]
	s_getpc_b64 s[0:1]
	s_add_u32 s0, s0, _ZN4opus14numeric_limitsItE8bin_qnanE@rel32@lo+4
	s_addc_u32 s1, s1, _ZN4opus14numeric_limitsItE8bin_qnanE@rel32@hi+12
	s_getpc_b64 s[2:3]
	s_add_u32 s2, s2, _ZN4opus14numeric_limitsItE7bin_infE@rel32@lo+4
	s_addc_u32 s3, s3, _ZN4opus14numeric_limitsItE7bin_infE@rel32@hi+12
	global_load_ushort v12, v2, s[0:1]
	global_load_ushort v13, v2, s[2:3]
	s_getpc_b64 s[2:3]
	s_add_u32 s2, s2, _ZN4opus14numeric_limitsIfE7bin_minE@rel32@lo+4
	s_addc_u32 s3, s3, _ZN4opus14numeric_limitsIfE7bin_minE@rel32@hi+12
	s_load_dwordx2 s[0:1], s[4:5], 0x0
	s_getpc_b64 s[4:5]
	s_add_u32 s4, s4, _ZN4opus14numeric_limitsIfE7bin_maxE@rel32@lo+4
	s_addc_u32 s5, s5, _ZN4opus14numeric_limitsIfE7bin_maxE@rel32@hi+12
	s_getpc_b64 s[6:7]
	s_add_u32 s6, s6, _ZN4opus14numeric_limitsIfE10bin_lowestE@rel32@lo+4
	s_addc_u32 s7, s7, _ZN4opus14numeric_limitsIfE10bin_lowestE@rel32@hi+12
	s_getpc_b64 s[8:9]
	s_add_u32 s8, s8, _ZN4opus14numeric_limitsIfE8bin_qnanE@rel32@lo+4
	s_addc_u32 s9, s9, _ZN4opus14numeric_limitsIfE8bin_qnanE@rel32@hi+12
	s_getpc_b64 s[10:11]
	s_add_u32 s10, s10, _ZN4opus14numeric_limitsIfE7bin_infE@rel32@lo+4
	s_addc_u32 s11, s11, _ZN4opus14numeric_limitsIfE7bin_infE@rel32@hi+12
	s_load_dword s12, s[2:3], 0x0
	s_load_dword s13, s[4:5], 0x0
	s_load_dword s14, s[6:7], 0x0
	s_load_dword s15, s[8:9], 0x0
	s_load_dword s16, s[10:11], 0x0
	v_mov_b32_e32 v0, 0xfe
	v_mov_b32_e32 v1, 0x7f
	;; [unrolled: 1-line block ×3, first 2 shown]
	v_bfrev_b32_e32 v20, 1
	v_mov_b32_e32 v30, 0x8000
	v_mov_b32_e32 v32, 0x80
	v_mov_b32_e32 v16, 0x7b
	v_mov_b32_e32 v17, 0xfb
	v_mov_b32_e32 v19, 0x7c
	v_bfrev_b32_e32 v21, -2
	v_mov_b32_e32 v26, -1
	v_mov_b32_e32 v31, 0x7fff
	v_mov_b32_e32 v38, 0xff
	;; [unrolled: 1-line block ×19, first 2 shown]
	s_waitcnt lgkmcnt(0)
	global_store_dwordx4 v2, v[0:3], s[0:1] offset:68
	global_store_dwordx4 v2, v[16:19], s[0:1] offset:84
	;; [unrolled: 1-line block ×5, first 2 shown]
	global_store_dwordx3 v2, v[40:42], s[0:1] offset:148
	global_store_dwordx4 v2, v[32:35], s[0:1] offset:180
	global_store_dwordx4 v2, v[36:39], s[0:1] offset:196
	v_mov_b32_e32 v0, s12
	v_mov_b32_e32 v3, v2
	;; [unrolled: 1-line block ×8, first 2 shown]
	global_store_dword v2, v0, s[0:1]
	global_store_dwordx4 v2, v[16:19], s[0:1] offset:4
	s_waitcnt vmcnt(16)
	global_store_dwordx4 v2, v[4:7], s[0:1] offset:20
	s_waitcnt vmcnt(13)
	;; [unrolled: 2-line block ×3, first 2 shown]
	global_store_dwordx4 v2, v[12:15], s[0:1] offset:52
	global_store_dwordx2 v2, v[2:3], s[0:1] offset:212
.LBB0_2:
	s_endpgm
	.section	.rodata,"a",@progbits
	.p2align	6, 0x0
	.amdhsa_kernel _ZN12_GLOBAL__N_121numeric_limits_kernelEPj
		.amdhsa_group_segment_fixed_size 0
		.amdhsa_private_segment_fixed_size 0
		.amdhsa_kernarg_size 8
		.amdhsa_user_sgpr_count 6
		.amdhsa_user_sgpr_private_segment_buffer 1
		.amdhsa_user_sgpr_dispatch_ptr 0
		.amdhsa_user_sgpr_queue_ptr 0
		.amdhsa_user_sgpr_kernarg_segment_ptr 1
		.amdhsa_user_sgpr_dispatch_id 0
		.amdhsa_user_sgpr_flat_scratch_init 0
		.amdhsa_user_sgpr_kernarg_preload_length 0
		.amdhsa_user_sgpr_kernarg_preload_offset 0
		.amdhsa_user_sgpr_private_segment_size 0
		.amdhsa_uses_dynamic_stack 0
		.amdhsa_system_sgpr_private_segment_wavefront_offset 0
		.amdhsa_system_sgpr_workgroup_id_x 1
		.amdhsa_system_sgpr_workgroup_id_y 0
		.amdhsa_system_sgpr_workgroup_id_z 0
		.amdhsa_system_sgpr_workgroup_info 0
		.amdhsa_system_vgpr_workitem_id 0
		.amdhsa_next_free_vgpr 43
		.amdhsa_next_free_sgpr 18
		.amdhsa_accum_offset 44
		.amdhsa_reserve_vcc 1
		.amdhsa_reserve_flat_scratch 0
		.amdhsa_float_round_mode_32 0
		.amdhsa_float_round_mode_16_64 0
		.amdhsa_float_denorm_mode_32 3
		.amdhsa_float_denorm_mode_16_64 3
		.amdhsa_dx10_clamp 1
		.amdhsa_ieee_mode 1
		.amdhsa_fp16_overflow 0
		.amdhsa_tg_split 0
		.amdhsa_exception_fp_ieee_invalid_op 0
		.amdhsa_exception_fp_denorm_src 0
		.amdhsa_exception_fp_ieee_div_zero 0
		.amdhsa_exception_fp_ieee_overflow 0
		.amdhsa_exception_fp_ieee_underflow 0
		.amdhsa_exception_fp_ieee_inexact 0
		.amdhsa_exception_int_div_zero 0
	.end_amdhsa_kernel
	.section	.text._ZN12_GLOBAL__N_121numeric_limits_kernelEPj,"axG",@progbits,_ZN12_GLOBAL__N_121numeric_limits_kernelEPj,comdat
.Lfunc_end0:
	.size	_ZN12_GLOBAL__N_121numeric_limits_kernelEPj, .Lfunc_end0-_ZN12_GLOBAL__N_121numeric_limits_kernelEPj
                                        ; -- End function
	.section	.AMDGPU.csdata,"",@progbits
; Kernel info:
; codeLenInByte = 768
; NumSgprs: 22
; NumVgprs: 43
; NumAgprs: 0
; TotalNumVgprs: 43
; ScratchSize: 0
; MemoryBound: 1
; FloatMode: 240
; IeeeMode: 1
; LDSByteSize: 0 bytes/workgroup (compile time only)
; SGPRBlocks: 2
; VGPRBlocks: 5
; NumSGPRsForWavesPerEU: 22
; NumVGPRsForWavesPerEU: 43
; AccumOffset: 44
; Occupancy: 8
; WaveLimiterHint : 1
; COMPUTE_PGM_RSRC2:SCRATCH_EN: 0
; COMPUTE_PGM_RSRC2:USER_SGPR: 6
; COMPUTE_PGM_RSRC2:TRAP_HANDLER: 0
; COMPUTE_PGM_RSRC2:TGID_X_EN: 1
; COMPUTE_PGM_RSRC2:TGID_Y_EN: 0
; COMPUTE_PGM_RSRC2:TGID_Z_EN: 0
; COMPUTE_PGM_RSRC2:TIDIG_COMP_CNT: 0
; COMPUTE_PGM_RSRC3_GFX90A:ACCUM_OFFSET: 10
; COMPUTE_PGM_RSRC3_GFX90A:TG_SPLIT: 0
	.text
	.p2alignl 6, 3212836864
	.fill 256, 4, 3212836864
	.protected	_ZN4opus14numeric_limitsIfE7bin_minE ; @_ZN4opus14numeric_limitsIfE7bin_minE
	.type	_ZN4opus14numeric_limitsIfE7bin_minE,@object
	.section	.rodata._ZN4opus14numeric_limitsIfE7bin_minE,"aG",@progbits,_ZN4opus14numeric_limitsIfE7bin_minE,comdat
	.weak	_ZN4opus14numeric_limitsIfE7bin_minE
	.p2align	2, 0x0
_ZN4opus14numeric_limitsIfE7bin_minE:
	.long	8388608                         ; 0x800000
	.size	_ZN4opus14numeric_limitsIfE7bin_minE, 4

	.protected	_ZN4opus14numeric_limitsIfE7bin_maxE ; @_ZN4opus14numeric_limitsIfE7bin_maxE
	.type	_ZN4opus14numeric_limitsIfE7bin_maxE,@object
	.section	.rodata._ZN4opus14numeric_limitsIfE7bin_maxE,"aG",@progbits,_ZN4opus14numeric_limitsIfE7bin_maxE,comdat
	.weak	_ZN4opus14numeric_limitsIfE7bin_maxE
	.p2align	2, 0x0
_ZN4opus14numeric_limitsIfE7bin_maxE:
	.long	2139095039                      ; 0x7f7fffff
	.size	_ZN4opus14numeric_limitsIfE7bin_maxE, 4

	.protected	_ZN4opus14numeric_limitsIfE10bin_lowestE ; @_ZN4opus14numeric_limitsIfE10bin_lowestE
	.type	_ZN4opus14numeric_limitsIfE10bin_lowestE,@object
	.section	.rodata._ZN4opus14numeric_limitsIfE10bin_lowestE,"aG",@progbits,_ZN4opus14numeric_limitsIfE10bin_lowestE,comdat
	.weak	_ZN4opus14numeric_limitsIfE10bin_lowestE
	.p2align	2, 0x0
_ZN4opus14numeric_limitsIfE10bin_lowestE:
	.long	4286578687                      ; 0xff7fffff
	.size	_ZN4opus14numeric_limitsIfE10bin_lowestE, 4

	.protected	_ZN4opus14numeric_limitsIfE8bin_qnanE ; @_ZN4opus14numeric_limitsIfE8bin_qnanE
	.type	_ZN4opus14numeric_limitsIfE8bin_qnanE,@object
	.section	.rodata._ZN4opus14numeric_limitsIfE8bin_qnanE,"aG",@progbits,_ZN4opus14numeric_limitsIfE8bin_qnanE,comdat
	.weak	_ZN4opus14numeric_limitsIfE8bin_qnanE
	.p2align	2, 0x0
_ZN4opus14numeric_limitsIfE8bin_qnanE:
	.long	2143289344                      ; 0x7fc00000
	.size	_ZN4opus14numeric_limitsIfE8bin_qnanE, 4

	.protected	_ZN4opus14numeric_limitsIfE7bin_infE ; @_ZN4opus14numeric_limitsIfE7bin_infE
	.type	_ZN4opus14numeric_limitsIfE7bin_infE,@object
	.section	.rodata._ZN4opus14numeric_limitsIfE7bin_infE,"aG",@progbits,_ZN4opus14numeric_limitsIfE7bin_infE,comdat
	.weak	_ZN4opus14numeric_limitsIfE7bin_infE
	.p2align	2, 0x0
_ZN4opus14numeric_limitsIfE7bin_infE:
	.long	2139095040                      ; 0x7f800000
	.size	_ZN4opus14numeric_limitsIfE7bin_infE, 4

	.protected	_ZN4opus14numeric_limitsIDF16_E7bin_minE ; @_ZN4opus14numeric_limitsIDF16_E7bin_minE
	.type	_ZN4opus14numeric_limitsIDF16_E7bin_minE,@object
	.section	.rodata._ZN4opus14numeric_limitsIDF16_E7bin_minE,"aG",@progbits,_ZN4opus14numeric_limitsIDF16_E7bin_minE,comdat
	.weak	_ZN4opus14numeric_limitsIDF16_E7bin_minE
	.p2align	1, 0x0
_ZN4opus14numeric_limitsIDF16_E7bin_minE:
	.short	1024                            ; 0x400
	.size	_ZN4opus14numeric_limitsIDF16_E7bin_minE, 2

	.protected	_ZN4opus14numeric_limitsIDF16_E7bin_maxE ; @_ZN4opus14numeric_limitsIDF16_E7bin_maxE
	.type	_ZN4opus14numeric_limitsIDF16_E7bin_maxE,@object
	.section	.rodata._ZN4opus14numeric_limitsIDF16_E7bin_maxE,"aG",@progbits,_ZN4opus14numeric_limitsIDF16_E7bin_maxE,comdat
	.weak	_ZN4opus14numeric_limitsIDF16_E7bin_maxE
	.p2align	1, 0x0
_ZN4opus14numeric_limitsIDF16_E7bin_maxE:
	.short	31743                           ; 0x7bff
	.size	_ZN4opus14numeric_limitsIDF16_E7bin_maxE, 2

	.protected	_ZN4opus14numeric_limitsIDF16_E10bin_lowestE ; @_ZN4opus14numeric_limitsIDF16_E10bin_lowestE
	.type	_ZN4opus14numeric_limitsIDF16_E10bin_lowestE,@object
	.section	.rodata._ZN4opus14numeric_limitsIDF16_E10bin_lowestE,"aG",@progbits,_ZN4opus14numeric_limitsIDF16_E10bin_lowestE,comdat
	.weak	_ZN4opus14numeric_limitsIDF16_E10bin_lowestE
	.p2align	1, 0x0
_ZN4opus14numeric_limitsIDF16_E10bin_lowestE:
	.short	64511                           ; 0xfbff
	.size	_ZN4opus14numeric_limitsIDF16_E10bin_lowestE, 2

	.protected	_ZN4opus14numeric_limitsIDF16_E8bin_qnanE ; @_ZN4opus14numeric_limitsIDF16_E8bin_qnanE
	.type	_ZN4opus14numeric_limitsIDF16_E8bin_qnanE,@object
	.section	.rodata._ZN4opus14numeric_limitsIDF16_E8bin_qnanE,"aG",@progbits,_ZN4opus14numeric_limitsIDF16_E8bin_qnanE,comdat
	.weak	_ZN4opus14numeric_limitsIDF16_E8bin_qnanE
	.p2align	1, 0x0
_ZN4opus14numeric_limitsIDF16_E8bin_qnanE:
	.short	32256                           ; 0x7e00
	.size	_ZN4opus14numeric_limitsIDF16_E8bin_qnanE, 2

	.protected	_ZN4opus14numeric_limitsIDF16_E7bin_infE ; @_ZN4opus14numeric_limitsIDF16_E7bin_infE
	.type	_ZN4opus14numeric_limitsIDF16_E7bin_infE,@object
	.section	.rodata._ZN4opus14numeric_limitsIDF16_E7bin_infE,"aG",@progbits,_ZN4opus14numeric_limitsIDF16_E7bin_infE,comdat
	.weak	_ZN4opus14numeric_limitsIDF16_E7bin_infE
	.p2align	1, 0x0
_ZN4opus14numeric_limitsIDF16_E7bin_infE:
	.short	31744                           ; 0x7c00
	.size	_ZN4opus14numeric_limitsIDF16_E7bin_infE, 2

	.protected	_ZN4opus14numeric_limitsItE7bin_minE ; @_ZN4opus14numeric_limitsItE7bin_minE
	.type	_ZN4opus14numeric_limitsItE7bin_minE,@object
	.section	.rodata._ZN4opus14numeric_limitsItE7bin_minE,"aG",@progbits,_ZN4opus14numeric_limitsItE7bin_minE,comdat
	.weak	_ZN4opus14numeric_limitsItE7bin_minE
	.p2align	1, 0x0
_ZN4opus14numeric_limitsItE7bin_minE:
	.short	128                             ; 0x80
	.size	_ZN4opus14numeric_limitsItE7bin_minE, 2

	.protected	_ZN4opus14numeric_limitsItE7bin_maxE ; @_ZN4opus14numeric_limitsItE7bin_maxE
	.type	_ZN4opus14numeric_limitsItE7bin_maxE,@object
	.section	.rodata._ZN4opus14numeric_limitsItE7bin_maxE,"aG",@progbits,_ZN4opus14numeric_limitsItE7bin_maxE,comdat
	.weak	_ZN4opus14numeric_limitsItE7bin_maxE
	.p2align	1, 0x0
_ZN4opus14numeric_limitsItE7bin_maxE:
	.short	32639                           ; 0x7f7f
	.size	_ZN4opus14numeric_limitsItE7bin_maxE, 2

	.protected	_ZN4opus14numeric_limitsItE10bin_lowestE ; @_ZN4opus14numeric_limitsItE10bin_lowestE
	.type	_ZN4opus14numeric_limitsItE10bin_lowestE,@object
	.section	.rodata._ZN4opus14numeric_limitsItE10bin_lowestE,"aG",@progbits,_ZN4opus14numeric_limitsItE10bin_lowestE,comdat
	.weak	_ZN4opus14numeric_limitsItE10bin_lowestE
	.p2align	1, 0x0
_ZN4opus14numeric_limitsItE10bin_lowestE:
	.short	65407                           ; 0xff7f
	.size	_ZN4opus14numeric_limitsItE10bin_lowestE, 2

	.protected	_ZN4opus14numeric_limitsItE8bin_qnanE ; @_ZN4opus14numeric_limitsItE8bin_qnanE
	.type	_ZN4opus14numeric_limitsItE8bin_qnanE,@object
	.section	.rodata._ZN4opus14numeric_limitsItE8bin_qnanE,"aG",@progbits,_ZN4opus14numeric_limitsItE8bin_qnanE,comdat
	.weak	_ZN4opus14numeric_limitsItE8bin_qnanE
	.p2align	1, 0x0
_ZN4opus14numeric_limitsItE8bin_qnanE:
	.short	32704                           ; 0x7fc0
	.size	_ZN4opus14numeric_limitsItE8bin_qnanE, 2

	.protected	_ZN4opus14numeric_limitsItE7bin_infE ; @_ZN4opus14numeric_limitsItE7bin_infE
	.type	_ZN4opus14numeric_limitsItE7bin_infE,@object
	.section	.rodata._ZN4opus14numeric_limitsItE7bin_infE,"aG",@progbits,_ZN4opus14numeric_limitsItE7bin_infE,comdat
	.weak	_ZN4opus14numeric_limitsItE7bin_infE
	.p2align	1, 0x0
_ZN4opus14numeric_limitsItE7bin_infE:
	.short	32640                           ; 0x7f80
	.size	_ZN4opus14numeric_limitsItE7bin_infE, 2

	.type	__hip_cuid_db65fa8bb40b777c,@object ; @__hip_cuid_db65fa8bb40b777c
	.section	.bss,"aw",@nobits
	.globl	__hip_cuid_db65fa8bb40b777c
__hip_cuid_db65fa8bb40b777c:
	.byte	0                               ; 0x0
	.size	__hip_cuid_db65fa8bb40b777c, 1

	.ident	"AMD clang version 19.0.0git (https://github.com/RadeonOpenCompute/llvm-project roc-6.4.0 25133 c7fe45cf4b819c5991fe208aaa96edf142730f1d)"
	.section	".note.GNU-stack","",@progbits
	.addrsig
	.addrsig_sym __hip_cuid_db65fa8bb40b777c
	.amdgpu_metadata
---
amdhsa.kernels:
  - .agpr_count:     0
    .args:
      - .address_space:  global
        .offset:         0
        .size:           8
        .value_kind:     global_buffer
    .group_segment_fixed_size: 0
    .kernarg_segment_align: 8
    .kernarg_segment_size: 8
    .language:       OpenCL C
    .language_version:
      - 2
      - 0
    .max_flat_workgroup_size: 1024
    .name:           _ZN12_GLOBAL__N_121numeric_limits_kernelEPj
    .private_segment_fixed_size: 0
    .sgpr_count:     22
    .sgpr_spill_count: 0
    .symbol:         _ZN12_GLOBAL__N_121numeric_limits_kernelEPj.kd
    .uniform_work_group_size: 1
    .uses_dynamic_stack: false
    .vgpr_count:     43
    .vgpr_spill_count: 0
    .wavefront_size: 64
amdhsa.target:   amdgcn-amd-amdhsa--gfx90a
amdhsa.version:
  - 1
  - 2
...

	.end_amdgpu_metadata
